;; amdgpu-corpus repo=ROCm/rocFFT kind=compiled arch=gfx1030 opt=O3
	.text
	.amdgcn_target "amdgcn-amd-amdhsa--gfx1030"
	.amdhsa_code_object_version 6
	.protected	fft_rtc_fwd_len160_factors_16_10_wgs_256_tpt_16_halfLds_sp_op_CI_CI_unitstride_sbrr_R2C_dirReg ; -- Begin function fft_rtc_fwd_len160_factors_16_10_wgs_256_tpt_16_halfLds_sp_op_CI_CI_unitstride_sbrr_R2C_dirReg
	.globl	fft_rtc_fwd_len160_factors_16_10_wgs_256_tpt_16_halfLds_sp_op_CI_CI_unitstride_sbrr_R2C_dirReg
	.p2align	8
	.type	fft_rtc_fwd_len160_factors_16_10_wgs_256_tpt_16_halfLds_sp_op_CI_CI_unitstride_sbrr_R2C_dirReg,@function
fft_rtc_fwd_len160_factors_16_10_wgs_256_tpt_16_halfLds_sp_op_CI_CI_unitstride_sbrr_R2C_dirReg: ; @fft_rtc_fwd_len160_factors_16_10_wgs_256_tpt_16_halfLds_sp_op_CI_CI_unitstride_sbrr_R2C_dirReg
; %bb.0:
	s_clause 0x2
	s_load_dwordx4 s[12:15], s[4:5], 0x0
	s_load_dwordx4 s[8:11], s[4:5], 0x58
	;; [unrolled: 1-line block ×3, first 2 shown]
	v_lshrrev_b32_e32 v7, 4, v0
	v_mov_b32_e32 v3, 0
	v_mov_b32_e32 v1, 0
	;; [unrolled: 1-line block ×3, first 2 shown]
	v_lshl_or_b32 v5, s6, 4, v7
	v_mov_b32_e32 v6, v3
	s_waitcnt lgkmcnt(0)
	v_cmp_lt_u64_e64 s0, s[14:15], 2
	s_and_b32 vcc_lo, exec_lo, s0
	s_cbranch_vccnz .LBB0_8
; %bb.1:
	s_load_dwordx2 s[0:1], s[4:5], 0x10
	v_mov_b32_e32 v1, 0
	v_mov_b32_e32 v2, 0
	s_add_u32 s2, s18, 8
	s_addc_u32 s3, s19, 0
	s_add_u32 s6, s16, 8
	s_addc_u32 s7, s17, 0
	v_mov_b32_e32 v29, v2
	v_mov_b32_e32 v28, v1
	s_mov_b64 s[22:23], 1
	s_waitcnt lgkmcnt(0)
	s_add_u32 s20, s0, 8
	s_addc_u32 s21, s1, 0
.LBB0_2:                                ; =>This Inner Loop Header: Depth=1
	s_load_dwordx2 s[24:25], s[20:21], 0x0
                                        ; implicit-def: $vgpr31_vgpr32
	s_mov_b32 s0, exec_lo
	s_waitcnt lgkmcnt(0)
	v_or_b32_e32 v4, s25, v6
	v_cmpx_ne_u64_e32 0, v[3:4]
	s_xor_b32 s1, exec_lo, s0
	s_cbranch_execz .LBB0_4
; %bb.3:                                ;   in Loop: Header=BB0_2 Depth=1
	v_cvt_f32_u32_e32 v4, s24
	v_cvt_f32_u32_e32 v8, s25
	s_sub_u32 s0, 0, s24
	s_subb_u32 s26, 0, s25
	v_fmac_f32_e32 v4, 0x4f800000, v8
	v_rcp_f32_e32 v4, v4
	v_mul_f32_e32 v4, 0x5f7ffffc, v4
	v_mul_f32_e32 v8, 0x2f800000, v4
	v_trunc_f32_e32 v8, v8
	v_fmac_f32_e32 v4, 0xcf800000, v8
	v_cvt_u32_f32_e32 v8, v8
	v_cvt_u32_f32_e32 v4, v4
	v_mul_lo_u32 v9, s0, v8
	v_mul_hi_u32 v10, s0, v4
	v_mul_lo_u32 v11, s26, v4
	v_add_nc_u32_e32 v9, v10, v9
	v_mul_lo_u32 v10, s0, v4
	v_add_nc_u32_e32 v9, v9, v11
	v_mul_hi_u32 v11, v4, v10
	v_mul_lo_u32 v12, v4, v9
	v_mul_hi_u32 v13, v4, v9
	v_mul_hi_u32 v14, v8, v10
	v_mul_lo_u32 v10, v8, v10
	v_mul_hi_u32 v15, v8, v9
	v_mul_lo_u32 v9, v8, v9
	v_add_co_u32 v11, vcc_lo, v11, v12
	v_add_co_ci_u32_e32 v12, vcc_lo, 0, v13, vcc_lo
	v_add_co_u32 v10, vcc_lo, v11, v10
	v_add_co_ci_u32_e32 v10, vcc_lo, v12, v14, vcc_lo
	v_add_co_ci_u32_e32 v11, vcc_lo, 0, v15, vcc_lo
	v_add_co_u32 v9, vcc_lo, v10, v9
	v_add_co_ci_u32_e32 v10, vcc_lo, 0, v11, vcc_lo
	v_add_co_u32 v4, vcc_lo, v4, v9
	v_add_co_ci_u32_e32 v8, vcc_lo, v8, v10, vcc_lo
	v_mul_hi_u32 v9, s0, v4
	v_mul_lo_u32 v11, s26, v4
	v_mul_lo_u32 v10, s0, v8
	v_add_nc_u32_e32 v9, v9, v10
	v_mul_lo_u32 v10, s0, v4
	v_add_nc_u32_e32 v9, v9, v11
	v_mul_hi_u32 v11, v4, v10
	v_mul_lo_u32 v12, v4, v9
	v_mul_hi_u32 v13, v4, v9
	v_mul_hi_u32 v14, v8, v10
	v_mul_lo_u32 v10, v8, v10
	v_mul_hi_u32 v15, v8, v9
	v_mul_lo_u32 v9, v8, v9
	v_add_co_u32 v11, vcc_lo, v11, v12
	v_add_co_ci_u32_e32 v12, vcc_lo, 0, v13, vcc_lo
	v_add_co_u32 v10, vcc_lo, v11, v10
	v_add_co_ci_u32_e32 v10, vcc_lo, v12, v14, vcc_lo
	v_add_co_ci_u32_e32 v11, vcc_lo, 0, v15, vcc_lo
	v_add_co_u32 v9, vcc_lo, v10, v9
	v_add_co_ci_u32_e32 v10, vcc_lo, 0, v11, vcc_lo
	v_add_co_u32 v4, vcc_lo, v4, v9
	v_add_co_ci_u32_e32 v12, vcc_lo, v8, v10, vcc_lo
	v_mul_hi_u32 v14, v5, v4
	v_mad_u64_u32 v[10:11], null, v6, v4, 0
	v_mad_u64_u32 v[8:9], null, v5, v12, 0
	;; [unrolled: 1-line block ×3, first 2 shown]
	v_add_co_u32 v4, vcc_lo, v14, v8
	v_add_co_ci_u32_e32 v8, vcc_lo, 0, v9, vcc_lo
	v_add_co_u32 v4, vcc_lo, v4, v10
	v_add_co_ci_u32_e32 v4, vcc_lo, v8, v11, vcc_lo
	v_add_co_ci_u32_e32 v8, vcc_lo, 0, v13, vcc_lo
	v_add_co_u32 v4, vcc_lo, v4, v12
	v_add_co_ci_u32_e32 v10, vcc_lo, 0, v8, vcc_lo
	v_mul_lo_u32 v11, s25, v4
	v_mad_u64_u32 v[8:9], null, s24, v4, 0
	v_mul_lo_u32 v12, s24, v10
	v_sub_co_u32 v8, vcc_lo, v5, v8
	v_add3_u32 v9, v9, v12, v11
	v_sub_nc_u32_e32 v11, v6, v9
	v_subrev_co_ci_u32_e64 v11, s0, s25, v11, vcc_lo
	v_add_co_u32 v12, s0, v4, 2
	v_add_co_ci_u32_e64 v13, s0, 0, v10, s0
	v_sub_co_u32 v14, s0, v8, s24
	v_sub_co_ci_u32_e32 v9, vcc_lo, v6, v9, vcc_lo
	v_subrev_co_ci_u32_e64 v11, s0, 0, v11, s0
	v_cmp_le_u32_e32 vcc_lo, s24, v14
	v_cmp_eq_u32_e64 s0, s25, v9
	v_cndmask_b32_e64 v14, 0, -1, vcc_lo
	v_cmp_le_u32_e32 vcc_lo, s25, v11
	v_cndmask_b32_e64 v15, 0, -1, vcc_lo
	v_cmp_le_u32_e32 vcc_lo, s24, v8
	;; [unrolled: 2-line block ×3, first 2 shown]
	v_cndmask_b32_e64 v16, 0, -1, vcc_lo
	v_cmp_eq_u32_e32 vcc_lo, s25, v11
	v_cndmask_b32_e64 v8, v16, v8, s0
	v_cndmask_b32_e32 v11, v15, v14, vcc_lo
	v_add_co_u32 v14, vcc_lo, v4, 1
	v_add_co_ci_u32_e32 v15, vcc_lo, 0, v10, vcc_lo
	v_cmp_ne_u32_e32 vcc_lo, 0, v11
	v_cndmask_b32_e32 v9, v15, v13, vcc_lo
	v_cndmask_b32_e32 v11, v14, v12, vcc_lo
	v_cmp_ne_u32_e32 vcc_lo, 0, v8
	v_cndmask_b32_e32 v32, v10, v9, vcc_lo
	v_cndmask_b32_e32 v31, v4, v11, vcc_lo
.LBB0_4:                                ;   in Loop: Header=BB0_2 Depth=1
	s_andn2_saveexec_b32 s0, s1
	s_cbranch_execz .LBB0_6
; %bb.5:                                ;   in Loop: Header=BB0_2 Depth=1
	v_cvt_f32_u32_e32 v4, s24
	s_sub_i32 s1, 0, s24
	v_mov_b32_e32 v32, v3
	v_rcp_iflag_f32_e32 v4, v4
	v_mul_f32_e32 v4, 0x4f7ffffe, v4
	v_cvt_u32_f32_e32 v4, v4
	v_mul_lo_u32 v8, s1, v4
	v_mul_hi_u32 v8, v4, v8
	v_add_nc_u32_e32 v4, v4, v8
	v_mul_hi_u32 v4, v5, v4
	v_mul_lo_u32 v8, v4, s24
	v_add_nc_u32_e32 v9, 1, v4
	v_sub_nc_u32_e32 v8, v5, v8
	v_subrev_nc_u32_e32 v10, s24, v8
	v_cmp_le_u32_e32 vcc_lo, s24, v8
	v_cndmask_b32_e32 v8, v8, v10, vcc_lo
	v_cndmask_b32_e32 v4, v4, v9, vcc_lo
	v_cmp_le_u32_e32 vcc_lo, s24, v8
	v_add_nc_u32_e32 v9, 1, v4
	v_cndmask_b32_e32 v31, v4, v9, vcc_lo
.LBB0_6:                                ;   in Loop: Header=BB0_2 Depth=1
	s_or_b32 exec_lo, exec_lo, s0
	v_mul_lo_u32 v4, v32, s24
	v_mul_lo_u32 v10, v31, s25
	s_load_dwordx2 s[0:1], s[6:7], 0x0
	v_mad_u64_u32 v[8:9], null, v31, s24, 0
	s_load_dwordx2 s[24:25], s[2:3], 0x0
	s_add_u32 s22, s22, 1
	s_addc_u32 s23, s23, 0
	s_add_u32 s2, s2, 8
	s_addc_u32 s3, s3, 0
	s_add_u32 s6, s6, 8
	v_add3_u32 v4, v9, v10, v4
	v_sub_co_u32 v5, vcc_lo, v5, v8
	s_addc_u32 s7, s7, 0
	s_add_u32 s20, s20, 8
	v_sub_co_ci_u32_e32 v4, vcc_lo, v6, v4, vcc_lo
	s_addc_u32 s21, s21, 0
	s_waitcnt lgkmcnt(0)
	v_mul_lo_u32 v6, s0, v4
	v_mul_lo_u32 v8, s1, v5
	v_mad_u64_u32 v[1:2], null, s0, v5, v[1:2]
	v_mul_lo_u32 v4, s24, v4
	v_mul_lo_u32 v9, s25, v5
	v_mad_u64_u32 v[28:29], null, s24, v5, v[28:29]
	v_cmp_ge_u64_e64 s0, s[22:23], s[14:15]
	v_add3_u32 v2, v8, v2, v6
	v_add3_u32 v29, v9, v29, v4
	s_and_b32 vcc_lo, exec_lo, s0
	s_cbranch_vccnz .LBB0_9
; %bb.7:                                ;   in Loop: Header=BB0_2 Depth=1
	v_mov_b32_e32 v5, v31
	v_mov_b32_e32 v6, v32
	s_branch .LBB0_2
.LBB0_8:
	v_mov_b32_e32 v29, v2
	v_mov_b32_e32 v32, v6
	;; [unrolled: 1-line block ×4, first 2 shown]
.LBB0_9:
	s_load_dwordx2 s[0:1], s[4:5], 0x28
	s_lshl_b64 s[4:5], s[14:15], 3
	v_and_b32_e32 v30, 15, v0
	s_add_u32 s2, s18, s4
	s_addc_u32 s3, s19, s5
                                        ; implicit-def: $vgpr33
	s_waitcnt lgkmcnt(0)
	v_cmp_gt_u64_e32 vcc_lo, s[0:1], v[31:32]
	v_cmp_le_u64_e64 s0, s[0:1], v[31:32]
	s_and_saveexec_b32 s1, s0
	s_xor_b32 s0, exec_lo, s1
; %bb.10:
	v_and_b32_e32 v33, 15, v0
                                        ; implicit-def: $vgpr1_vgpr2
                                        ; implicit-def: $vgpr30
; %bb.11:
	s_or_saveexec_b32 s1, s0
	v_mul_u32_u24_e32 v0, 0xa1, v7
	v_lshlrev_b32_e32 v42, 3, v0
	s_xor_b32 exec_lo, exec_lo, s1
	s_cbranch_execz .LBB0_13
; %bb.12:
	s_add_u32 s4, s16, s4
	s_addc_u32 s5, s17, s5
	v_lshlrev_b32_e32 v20, 3, v30
	s_load_dwordx2 s[4:5], s[4:5], 0x0
	v_mov_b32_e32 v33, v30
	s_waitcnt lgkmcnt(0)
	v_mul_lo_u32 v0, s5, v31
	v_mul_lo_u32 v5, s4, v32
	v_mad_u64_u32 v[3:4], null, s4, v31, 0
	v_add3_u32 v4, v4, v5, v0
	v_lshlrev_b64 v[0:1], 3, v[1:2]
	v_lshlrev_b64 v[3:4], 3, v[3:4]
	v_add_co_u32 v2, s0, s8, v3
	v_add_co_ci_u32_e64 v3, s0, s9, v4, s0
	v_add_co_u32 v0, s0, v2, v0
	v_add_co_ci_u32_e64 v1, s0, v3, v1, s0
	;; [unrolled: 2-line block ×3, first 2 shown]
	v_add3_u32 v20, 0, v42, v20
	s_clause 0x9
	global_load_dwordx2 v[2:3], v[0:1], off
	global_load_dwordx2 v[4:5], v[0:1], off offset:128
	global_load_dwordx2 v[6:7], v[0:1], off offset:256
	;; [unrolled: 1-line block ×9, first 2 shown]
	s_waitcnt vmcnt(8)
	ds_write2_b64 v20, v[2:3], v[4:5] offset1:16
	s_waitcnt vmcnt(6)
	ds_write2_b64 v20, v[6:7], v[8:9] offset0:32 offset1:48
	s_waitcnt vmcnt(4)
	ds_write2_b64 v20, v[10:11], v[12:13] offset0:64 offset1:80
	;; [unrolled: 2-line block ×4, first 2 shown]
.LBB0_13:
	s_or_b32 exec_lo, exec_lo, s1
	v_lshlrev_b32_e32 v40, 3, v33
	v_add_nc_u32_e32 v38, 0, v42
	s_waitcnt lgkmcnt(0)
	s_barrier
	buffer_gl0_inv
	v_add3_u32 v41, 0, v40, v42
	v_add_nc_u32_e32 v39, v38, v40
	s_mov_b32 s1, exec_lo
	ds_read2_b64 v[0:3], v41 offset0:10 offset1:20
	ds_read2_b64 v[8:11], v41 offset0:30 offset1:40
	ds_read2_b64 v[4:7], v41 offset0:50 offset1:60
	ds_read2_b64 v[12:15], v41 offset0:70 offset1:80
	ds_read2_b64 v[20:23], v41 offset0:90 offset1:100
	ds_read2_b64 v[16:19], v41 offset0:110 offset1:120
	ds_read2_b64 v[24:27], v41 offset0:130 offset1:140
	ds_read_b64 v[34:35], v39
	ds_read_b64 v[36:37], v41 offset:1200
	s_waitcnt lgkmcnt(0)
	s_barrier
	buffer_gl0_inv
	v_cmpx_gt_u32_e32 10, v33
	s_cbranch_execz .LBB0_15
; %bb.14:
	v_sub_f32_e32 v26, v6, v26
	v_sub_f32_e32 v22, v2, v22
	;; [unrolled: 1-line block ×20, first 2 shown]
	v_fma_f32 v54, v2, 2.0, -v22
	v_fma_f32 v6, v6, 2.0, -v26
	v_add_f32_e32 v43, v23, v26
	v_add_f32_e32 v44, v15, v18
	;; [unrolled: 1-line block ×4, first 2 shown]
	v_fmamk_f32 v52, v49, 0x3f3504f3, v50
	v_fma_f32 v26, v35, 2.0, -v15
	v_fma_f32 v11, v11, 2.0, -v19
	v_fmamk_f32 v19, v47, 0x3f3504f3, v53
	v_sub_f32_e32 v35, v54, v6
	v_fma_f32 v6, v12, 2.0, -v36
	v_fma_f32 v36, v1, 2.0, -v21
	;; [unrolled: 1-line block ×6, first 2 shown]
	v_fmamk_f32 v51, v45, 0x3f3504f3, v46
	v_fmac_f32_e32 v52, 0xbf3504f3, v45
	v_sub_f32_e32 v55, v26, v11
	v_fma_f32 v11, v8, 2.0, -v16
	v_fmac_f32_e32 v19, 0xbf3504f3, v43
	v_sub_f32_e32 v56, v24, v5
	v_fma_f32 v34, v34, 2.0, -v14
	v_fma_f32 v5, v10, 2.0, -v18
	;; [unrolled: 1-line block ×8, first 2 shown]
	v_fmamk_f32 v48, v43, 0x3f3504f3, v44
	v_fmac_f32_e32 v51, 0x3f3504f3, v49
	v_fma_f32 v0, v0, 2.0, -v20
	v_sub_f32_e32 v12, v11, v6
	v_sub_f32_e32 v13, v36, v1
	v_fmamk_f32 v1, v52, 0x3f6c835e, v19
	v_sub_f32_e32 v59, v34, v5
	v_fma_f32 v5, v22, 2.0, -v47
	v_fma_f32 v23, v20, 2.0, -v50
	;; [unrolled: 1-line block ×3, first 2 shown]
	v_fmamk_f32 v27, v8, 0xbf3504f3, v7
	v_fmamk_f32 v45, v10, 0xbf3504f3, v17
	v_fmac_f32_e32 v48, 0x3f3504f3, v47
	v_add_f32_e32 v25, v55, v35
	v_sub_f32_e32 v37, v0, v4
	v_add_f32_e32 v57, v13, v12
	v_fmac_f32_e32 v1, 0xbec3ef15, v51
	v_fma_f32 v21, v14, 2.0, -v53
	v_sub_f32_e32 v14, v18, v3
	v_fmamk_f32 v43, v9, 0xbf3504f3, v23
	v_fmac_f32_e32 v27, 0x3f3504f3, v5
	v_fmac_f32_e32 v45, 0x3f3504f3, v9
	v_fma_f32 v34, v34, 2.0, -v59
	v_fma_f32 v15, v54, 2.0, -v35
	v_fmamk_f32 v2, v51, 0x3f6c835e, v48
	v_sub_f32_e32 v58, v37, v56
	v_fmamk_f32 v4, v57, 0x3f3504f3, v25
	v_fmamk_f32 v47, v5, 0xbf3504f3, v21
	v_sub_f32_e32 v49, v59, v14
	v_fmac_f32_e32 v43, 0xbf3504f3, v10
	v_fma_f32 v5, v19, 2.0, -v1
	v_fmamk_f32 v10, v45, 0x3ec3ef15, v27
	v_fma_f32 v60, v26, 2.0, -v55
	v_fma_f32 v14, v18, 2.0, -v14
	;; [unrolled: 1-line block ×4, first 2 shown]
	v_sub_f32_e32 v46, v34, v15
	v_fma_f32 v35, v36, 2.0, -v13
	v_fma_f32 v15, v24, 2.0, -v56
	;; [unrolled: 1-line block ×4, first 2 shown]
	v_fmac_f32_e32 v2, 0x3ec3ef15, v52
	v_fmac_f32_e32 v4, 0x3f3504f3, v58
	;; [unrolled: 1-line block ×3, first 2 shown]
	v_fma_f32 v0, v0, 2.0, -v37
	v_fma_f32 v11, v11, 2.0, -v12
	v_fmac_f32_e32 v10, 0x3f6c835e, v43
	v_fmamk_f32 v16, v26, 0xbec3ef15, v22
	v_fma_f32 v24, v55, 2.0, -v25
	v_fma_f32 v36, v13, 2.0, -v57
	v_sub_f32_e32 v44, v35, v15
	v_fmamk_f32 v15, v18, 0xbec3ef15, v19
	v_fma_f32 v6, v48, 2.0, -v2
	v_fma_f32 v8, v25, 2.0, -v4
	v_fmamk_f32 v9, v43, 0x3ec3ef15, v47
	v_sub_f32_e32 v61, v60, v14
	v_sub_f32_e32 v62, v0, v11
	v_fma_f32 v12, v27, 2.0, -v10
	v_fmac_f32_e32 v16, 0x3f6c835e, v18
	v_fma_f32 v25, v37, 2.0, -v58
	v_fmamk_f32 v18, v36, 0xbf3504f3, v24
	v_fmac_f32_e32 v15, 0xbf6c835e, v26
	v_fma_f32 v48, v59, 2.0, -v49
	v_fma_f32 v7, v7, 2.0, -v27
	;; [unrolled: 1-line block ×5, first 2 shown]
	v_fmac_f32_e32 v9, 0xbf6c835e, v45
	v_fmac_f32_e32 v18, 0x3f3504f3, v25
	v_fma_f32 v21, v19, 2.0, -v15
	v_fmamk_f32 v17, v25, 0xbf3504f3, v48
	v_fmamk_f32 v26, v27, 0xbf6c835e, v7
	;; [unrolled: 1-line block ×3, first 2 shown]
	v_fma_f32 v19, v60, 2.0, -v61
	v_fma_f32 v35, v35, 2.0, -v44
	;; [unrolled: 1-line block ×4, first 2 shown]
	v_fmamk_f32 v3, v58, 0x3f3504f3, v49
	v_fmac_f32_e32 v26, 0x3ec3ef15, v23
	v_fmac_f32_e32 v25, 0xbec3ef15, v27
	v_sub_f32_e32 v35, v19, v35
	v_sub_f32_e32 v34, v45, v0
	v_lshlrev_b32_e32 v0, 7, v33
	v_fmac_f32_e32 v17, 0xbf3504f3, v36
	v_add_f32_e32 v14, v61, v62
	v_sub_f32_e32 v13, v46, v44
	v_fmac_f32_e32 v3, 0xbf3504f3, v57
	v_fma_f32 v37, v7, 2.0, -v26
	v_fma_f32 v36, v43, 2.0, -v25
	;; [unrolled: 1-line block ×4, first 2 shown]
	v_add3_u32 v0, 0, v0, v42
	v_fma_f32 v22, v22, 2.0, -v16
	v_fma_f32 v24, v24, 2.0, -v18
	;; [unrolled: 1-line block ×7, first 2 shown]
	ds_write2_b64 v0, v[43:44], v[36:37] offset1:1
	ds_write2_b64 v0, v[23:24], v[21:22] offset0:2 offset1:3
	ds_write2_b64 v0, v[19:20], v[11:12] offset0:4 offset1:5
	;; [unrolled: 1-line block ×7, first 2 shown]
.LBB0_15:
	s_or_b32 exec_lo, exec_lo, s1
	v_mul_u32_u24_e32 v0, 9, v33
	s_load_dwordx2 s[2:3], s[2:3], 0x0
	s_waitcnt lgkmcnt(0)
	s_barrier
	buffer_gl0_inv
	v_lshlrev_b32_e32 v16, 3, v0
	s_mov_b32 s1, exec_lo
	s_clause 0x4
	global_load_dwordx4 v[0:3], v16, s[12:13]
	global_load_dwordx4 v[4:7], v16, s[12:13] offset:16
	global_load_dwordx4 v[8:11], v16, s[12:13] offset:32
	;; [unrolled: 1-line block ×3, first 2 shown]
	global_load_dwordx2 v[42:43], v16, s[12:13] offset:64
	ds_read2_b64 v[16:19], v41 offset0:16 offset1:32
	ds_read2_b64 v[20:23], v41 offset0:48 offset1:64
	;; [unrolled: 1-line block ×4, first 2 shown]
	ds_read_b64 v[44:45], v39
	ds_read_b64 v[46:47], v41 offset:1152
	s_waitcnt vmcnt(0) lgkmcnt(0)
	s_barrier
	buffer_gl0_inv
	v_mul_f32_e32 v48, v1, v17
	v_mul_f32_e32 v49, v1, v16
	;; [unrolled: 1-line block ×16, first 2 shown]
	v_fma_f32 v16, v0, v16, -v48
	v_fmac_f32_e32 v49, v0, v17
	v_fma_f32 v0, v2, v18, -v1
	v_fmac_f32_e32 v3, v2, v19
	v_mul_f32_e32 v1, v47, v43
	v_mul_f32_e32 v2, v46, v43
	v_fma_f32 v17, v4, v20, -v50
	v_fmac_f32_e32 v5, v4, v21
	v_fma_f32 v4, v6, v22, -v51
	v_fmac_f32_e32 v7, v6, v23
	;; [unrolled: 2-line block ×7, first 2 shown]
	v_add_f32_e32 v14, v44, v0
	v_sub_f32_e32 v21, v0, v4
	v_sub_f32_e32 v22, v12, v8
	;; [unrolled: 1-line block ×4, first 2 shown]
	v_add_f32_e32 v26, v45, v3
	v_sub_f32_e32 v35, v3, v7
	v_sub_f32_e32 v36, v15, v11
	v_add_f32_e32 v46, v6, v10
	v_add_f32_e32 v56, v9, v13
	v_add_f32_e32 v43, v16, v17
	v_add_f32_e32 v52, v17, v1
	v_add_f32_e32 v55, v49, v5
	v_add_f32_e32 v60, v5, v2
	v_add_f32_e32 v18, v4, v8
	v_sub_f32_e32 v19, v3, v15
	v_sub_f32_e32 v20, v7, v11
	v_add_f32_e32 v27, v7, v11
	v_sub_f32_e32 v34, v4, v8
	v_add_f32_e32 v37, v3, v15
	v_sub_f32_e32 v3, v7, v3
	v_sub_f32_e32 v47, v5, v2
	;; [unrolled: 1-line block ×5, first 2 shown]
	v_add_f32_e32 v4, v14, v4
	v_add_f32_e32 v14, v21, v22
	;; [unrolled: 1-line block ×5, first 2 shown]
	v_fma_f32 v25, -0.5, v46, v16
	v_fma_f32 v35, -0.5, v56, v49
	v_sub_f32_e32 v48, v9, v13
	v_sub_f32_e32 v57, v6, v10
	;; [unrolled: 1-line block ×4, first 2 shown]
	v_add_f32_e32 v6, v43, v6
	v_fmac_f32_e32 v16, -0.5, v52
	v_add_f32_e32 v9, v55, v9
	v_fmac_f32_e32 v49, -0.5, v60
	v_add_f32_e32 v23, v0, v12
	v_sub_f32_e32 v42, v11, v15
	v_sub_f32_e32 v51, v1, v10
	;; [unrolled: 1-line block ×3, first 2 shown]
	v_add_f32_e32 v4, v4, v8
	v_add_f32_e32 v7, v7, v11
	v_fmamk_f32 v8, v47, 0x3f737871, v25
	v_fmamk_f32 v11, v17, 0xbf737871, v35
	v_sub_f32_e32 v54, v10, v1
	v_sub_f32_e32 v61, v13, v2
	v_fma_f32 v18, -0.5, v18, v44
	v_add_f32_e32 v6, v6, v10
	v_fmamk_f32 v10, v48, 0xbf737871, v16
	v_fmac_f32_e32 v16, 0x3f737871, v48
	v_add_f32_e32 v9, v9, v13
	v_fmamk_f32 v13, v57, 0x3f737871, v49
	v_fmac_f32_e32 v49, 0xbf737871, v57
	v_fma_f32 v21, -0.5, v23, v44
	v_fma_f32 v23, -0.5, v27, v45
	v_fmac_f32_e32 v45, -0.5, v37
	v_fmac_f32_e32 v25, 0xbf737871, v47
	v_fmac_f32_e32 v35, 0x3f737871, v17
	v_sub_f32_e32 v0, v0, v12
	v_add_f32_e32 v26, v50, v51
	v_add_f32_e32 v36, v58, v59
	v_fmac_f32_e32 v8, 0x3f167918, v48
	v_fmac_f32_e32 v11, 0xbf167918, v57
	v_add_f32_e32 v27, v53, v54
	v_add_f32_e32 v5, v5, v61
	v_fmamk_f32 v37, v19, 0x3f737871, v18
	v_fmac_f32_e32 v18, 0xbf737871, v19
	v_fmac_f32_e32 v10, 0x3f167918, v47
	;; [unrolled: 1-line block ×5, first 2 shown]
	v_fmamk_f32 v44, v34, 0x3f737871, v45
	v_fmac_f32_e32 v45, 0xbf737871, v34
	v_fmac_f32_e32 v25, 0xbf167918, v48
	;; [unrolled: 1-line block ×3, first 2 shown]
	v_fmamk_f32 v43, v0, 0xbf737871, v23
	v_fmac_f32_e32 v8, 0x3e9e377a, v26
	v_fmac_f32_e32 v11, 0x3e9e377a, v36
	v_add_f32_e32 v3, v3, v42
	v_fmamk_f32 v42, v20, 0xbf737871, v21
	v_fmac_f32_e32 v21, 0x3f737871, v20
	v_add_f32_e32 v4, v4, v12
	v_fmac_f32_e32 v37, 0x3f167918, v20
	v_fmac_f32_e32 v18, 0xbf167918, v20
	v_add_f32_e32 v6, v6, v1
	v_fmac_f32_e32 v10, 0x3e9e377a, v27
	v_fmac_f32_e32 v16, 0x3e9e377a, v27
	;; [unrolled: 1-line block ×5, first 2 shown]
	v_add_f32_e32 v7, v7, v15
	v_fmac_f32_e32 v44, 0xbf167918, v0
	v_fmac_f32_e32 v45, 0x3f167918, v0
	v_add_f32_e32 v9, v9, v2
	v_fmac_f32_e32 v25, 0x3e9e377a, v26
	v_fmac_f32_e32 v35, 0x3e9e377a, v36
	;; [unrolled: 1-line block ×3, first 2 shown]
	v_mul_f32_e32 v12, 0x3f167918, v11
	v_mul_f32_e32 v15, 0xbf167918, v8
	v_fmac_f32_e32 v42, 0x3f167918, v19
	v_fmac_f32_e32 v21, 0xbf167918, v19
	;; [unrolled: 1-line block ×4, first 2 shown]
	v_add_f32_e32 v0, v4, v6
	v_sub_f32_e32 v2, v4, v6
	v_mul_f32_e32 v14, 0x3f737871, v13
	v_mul_f32_e32 v4, 0x3e9e377a, v16
	;; [unrolled: 1-line block ×4, first 2 shown]
	v_fmac_f32_e32 v23, 0x3f167918, v34
	v_fmac_f32_e32 v44, 0x3e9e377a, v3
	;; [unrolled: 1-line block ×3, first 2 shown]
	v_add_f32_e32 v1, v7, v9
	v_sub_f32_e32 v3, v7, v9
	v_mul_f32_e32 v5, 0x3f4f1bbd, v25
	v_mul_f32_e32 v7, 0x3f4f1bbd, v35
	v_fmac_f32_e32 v43, 0x3e9e377a, v24
	v_fmac_f32_e32 v12, 0x3f4f1bbd, v8
	;; [unrolled: 1-line block ×6, first 2 shown]
	v_fma_f32 v19, 0x3f737871, v49, -v4
	v_fmac_f32_e32 v17, 0x3e9e377a, v13
	v_fma_f32 v22, 0xbf737871, v16, -v6
	v_fmac_f32_e32 v23, 0x3e9e377a, v24
	v_fma_f32 v20, 0x3f167918, v35, -v5
	v_fma_f32 v24, 0xbf167918, v25, -v7
	v_add_f32_e32 v4, v37, v12
	v_add_f32_e32 v5, v43, v15
	;; [unrolled: 1-line block ×8, first 2 shown]
	v_sub_f32_e32 v12, v37, v12
	v_sub_f32_e32 v14, v42, v14
	;; [unrolled: 1-line block ×8, first 2 shown]
	ds_write2_b64 v41, v[0:1], v[4:5] offset1:16
	ds_write2_b64 v41, v[6:7], v[8:9] offset0:32 offset1:48
	ds_write2_b64 v41, v[10:11], v[2:3] offset0:64 offset1:80
	;; [unrolled: 1-line block ×4, first 2 shown]
	s_waitcnt lgkmcnt(0)
	s_barrier
	buffer_gl0_inv
	ds_read_b64 v[2:3], v39
	v_sub_nc_u32_e32 v4, v38, v40
                                        ; implicit-def: $vgpr0
                                        ; implicit-def: $vgpr5
                                        ; implicit-def: $vgpr6
	v_cmpx_ne_u32_e32 0, v33
	s_xor_b32 s1, exec_lo, s1
	s_cbranch_execz .LBB0_17
; %bb.16:
	v_mov_b32_e32 v34, 0
	v_lshlrev_b64 v[0:1], 3, v[33:34]
	v_add_co_u32 v0, s0, s12, v0
	v_add_co_ci_u32_e64 v1, s0, s13, v1, s0
	global_load_dwordx2 v[7:8], v[0:1], off offset:1152
	ds_read_b64 v[0:1], v4 offset:1280
	s_waitcnt lgkmcnt(0)
	v_sub_f32_e32 v5, v2, v0
	v_add_f32_e32 v6, v1, v3
	v_sub_f32_e32 v1, v3, v1
	v_add_f32_e32 v0, v0, v2
	v_mul_f32_e32 v3, 0.5, v5
	v_mul_f32_e32 v2, 0.5, v6
	;; [unrolled: 1-line block ×3, first 2 shown]
	s_waitcnt vmcnt(0)
	v_mul_f32_e32 v6, v8, v3
	v_fma_f32 v9, v2, v8, v1
	v_fma_f32 v1, v2, v8, -v1
	v_fma_f32 v5, 0.5, v0, v6
	v_fma_f32 v0, v0, 0.5, -v6
	v_fma_f32 v6, -v7, v3, v9
	v_fma_f32 v1, -v7, v3, v1
	v_fmac_f32_e32 v5, v7, v2
	v_fma_f32 v0, -v7, v2, v0
                                        ; implicit-def: $vgpr2_vgpr3
.LBB0_17:
	s_andn2_saveexec_b32 s0, s1
	s_cbranch_execz .LBB0_19
; %bb.18:
	ds_read_b32 v1, v38 offset:644
	v_mov_b32_e32 v33, 0
	s_waitcnt lgkmcnt(1)
	v_add_f32_e32 v5, v2, v3
	v_sub_f32_e32 v0, v2, v3
	v_mov_b32_e32 v34, 0
	v_mov_b32_e32 v6, 0
	s_waitcnt lgkmcnt(0)
	v_xor_b32_e32 v2, 0x80000000, v1
	v_mov_b32_e32 v1, 0
	ds_write_b32 v38, v2 offset:644
.LBB0_19:
	s_or_b32 exec_lo, exec_lo, s0
	s_waitcnt lgkmcnt(0)
	v_lshlrev_b64 v[2:3], 3, v[33:34]
	s_add_u32 s0, s12, 0x480
	s_addc_u32 s1, s13, 0
	v_add_co_u32 v2, s0, s0, v2
	v_add_co_ci_u32_e64 v3, s0, s1, v3, s0
	s_clause 0x3
	global_load_dwordx2 v[7:8], v[2:3], off offset:128
	global_load_dwordx2 v[9:10], v[2:3], off offset:256
	global_load_dwordx2 v[11:12], v[2:3], off offset:384
	global_load_dwordx2 v[2:3], v[2:3], off offset:512
	ds_write2_b32 v39, v5, v6 offset1:1
	ds_write_b64 v4, v[0:1] offset:1280
	ds_read_b64 v[0:1], v39 offset:128
	ds_read_b64 v[5:6], v4 offset:1152
	s_waitcnt lgkmcnt(0)
	v_sub_f32_e32 v13, v0, v5
	v_add_f32_e32 v14, v1, v6
	v_sub_f32_e32 v1, v1, v6
	v_add_f32_e32 v0, v0, v5
	v_mul_f32_e32 v6, 0.5, v13
	v_mul_f32_e32 v13, 0.5, v14
	v_mul_f32_e32 v1, 0.5, v1
	s_waitcnt vmcnt(3)
	v_mul_f32_e32 v5, v8, v6
	v_fma_f32 v14, v13, v8, v1
	v_fma_f32 v1, v13, v8, -v1
	v_fma_f32 v8, 0.5, v0, v5
	v_fma_f32 v0, v0, 0.5, -v5
	v_fma_f32 v5, -v7, v6, v14
	v_fma_f32 v1, -v7, v6, v1
	v_fmac_f32_e32 v8, v7, v13
	v_fma_f32 v0, -v7, v13, v0
	ds_write2_b32 v39, v8, v5 offset0:32 offset1:33
	ds_write_b64 v4, v[0:1] offset:1152
	ds_read_b64 v[0:1], v39 offset:256
	ds_read_b64 v[5:6], v4 offset:1024
	s_waitcnt lgkmcnt(0)
	v_sub_f32_e32 v7, v0, v5
	v_add_f32_e32 v8, v1, v6
	v_sub_f32_e32 v1, v1, v6
	v_add_f32_e32 v0, v0, v5
	v_mul_f32_e32 v6, 0.5, v7
	v_mul_f32_e32 v7, 0.5, v8
	v_mul_f32_e32 v1, 0.5, v1
	s_waitcnt vmcnt(2)
	v_mul_f32_e32 v5, v10, v6
	v_fma_f32 v8, v7, v10, v1
	v_fma_f32 v1, v7, v10, -v1
	v_fma_f32 v10, 0.5, v0, v5
	v_fma_f32 v0, v0, 0.5, -v5
	v_fma_f32 v5, -v9, v6, v8
	v_fma_f32 v1, -v9, v6, v1
	v_fmac_f32_e32 v10, v9, v7
	v_fma_f32 v0, -v9, v7, v0
	ds_write2_b32 v39, v10, v5 offset0:64 offset1:65
	;; [unrolled: 22-line block ×4, first 2 shown]
	ds_write_b64 v4, v[0:1] offset:768
	s_waitcnt lgkmcnt(0)
	s_barrier
	buffer_gl0_inv
	s_and_saveexec_b32 s0, vcc_lo
	s_cbranch_execz .LBB0_22
; %bb.20:
	v_mul_lo_u32 v3, s3, v31
	v_mul_lo_u32 v4, s2, v32
	v_mad_u64_u32 v[0:1], null, s2, v31, 0
	v_lshl_add_u32 v2, v30, 3, v38
	v_mov_b32_e32 v31, 0
	v_lshlrev_b64 v[11:12], 3, v[28:29]
	v_add_nc_u32_e32 v13, 16, v30
	v_add_nc_u32_e32 v15, 32, v30
	ds_read2_b64 v[7:10], v2 offset0:32 offset1:48
	v_add3_u32 v1, v1, v4, v3
	ds_read2_b64 v[3:6], v2 offset1:16
	v_mov_b32_e32 v14, v31
	v_lshlrev_b64 v[17:18], 3, v[30:31]
	v_mov_b32_e32 v16, v31
	v_lshlrev_b64 v[0:1], 3, v[0:1]
	v_lshlrev_b64 v[13:14], 3, v[13:14]
	v_add_co_u32 v0, vcc_lo, s10, v0
	v_add_co_ci_u32_e32 v1, vcc_lo, s11, v1, vcc_lo
	v_add_co_u32 v0, vcc_lo, v0, v11
	v_add_co_ci_u32_e32 v1, vcc_lo, v1, v12, vcc_lo
	v_lshlrev_b64 v[11:12], 3, v[15:16]
	v_add_co_u32 v15, vcc_lo, v0, v17
	v_add_co_ci_u32_e32 v16, vcc_lo, v1, v18, vcc_lo
	v_add_co_u32 v13, vcc_lo, v0, v13
	v_add_co_ci_u32_e32 v14, vcc_lo, v1, v14, vcc_lo
	s_waitcnt lgkmcnt(0)
	global_store_dwordx2 v[15:16], v[3:4], off
	v_add_co_u32 v3, vcc_lo, v0, v11
	v_add_co_ci_u32_e32 v4, vcc_lo, v1, v12, vcc_lo
	v_add_nc_u32_e32 v11, 48, v30
	v_mov_b32_e32 v12, v31
	global_store_dwordx2 v[13:14], v[5:6], off
	global_store_dwordx2 v[3:4], v[7:8], off
	v_add_nc_u32_e32 v15, 64, v30
	v_mov_b32_e32 v16, v31
	ds_read2_b64 v[3:6], v2 offset0:64 offset1:80
	v_lshlrev_b64 v[7:8], 3, v[11:12]
	v_add_nc_u32_e32 v13, 0x50, v30
	v_mov_b32_e32 v14, v31
	v_lshlrev_b64 v[11:12], 3, v[15:16]
	v_add_nc_u32_e32 v15, 0x60, v30
	v_add_nc_u32_e32 v17, 0x90, v30
	v_add_co_u32 v7, vcc_lo, v0, v7
	v_lshlrev_b64 v[13:14], 3, v[13:14]
	v_add_co_ci_u32_e32 v8, vcc_lo, v1, v8, vcc_lo
	v_add_co_u32 v11, vcc_lo, v0, v11
	v_add_co_ci_u32_e32 v12, vcc_lo, v1, v12, vcc_lo
	v_add_co_u32 v13, vcc_lo, v0, v13
	v_add_co_ci_u32_e32 v14, vcc_lo, v1, v14, vcc_lo
	global_store_dwordx2 v[7:8], v[9:10], off
	s_waitcnt lgkmcnt(0)
	global_store_dwordx2 v[11:12], v[3:4], off
	global_store_dwordx2 v[13:14], v[5:6], off
	v_lshlrev_b64 v[7:8], 3, v[15:16]
	v_add_nc_u32_e32 v9, 0x70, v30
	v_mov_b32_e32 v10, v31
	v_add_nc_u32_e32 v11, 0x80, v30
	v_mov_b32_e32 v12, v31
	ds_read2_b64 v[3:6], v2 offset0:96 offset1:112
	v_add_co_u32 v13, vcc_lo, v0, v7
	v_lshlrev_b64 v[15:16], 3, v[9:10]
	v_mov_b32_e32 v18, v31
	v_add_co_ci_u32_e32 v14, vcc_lo, v1, v8, vcc_lo
	ds_read2_b64 v[7:10], v2 offset0:128 offset1:144
	v_lshlrev_b64 v[11:12], 3, v[11:12]
	v_add_co_u32 v15, vcc_lo, v0, v15
	v_lshlrev_b64 v[17:18], 3, v[17:18]
	v_add_co_ci_u32_e32 v16, vcc_lo, v1, v16, vcc_lo
	v_add_co_u32 v11, vcc_lo, v0, v11
	v_add_co_ci_u32_e32 v12, vcc_lo, v1, v12, vcc_lo
	v_add_co_u32 v17, vcc_lo, v0, v17
	v_add_co_ci_u32_e32 v18, vcc_lo, v1, v18, vcc_lo
	v_cmp_eq_u32_e32 vcc_lo, 15, v30
	s_waitcnt lgkmcnt(1)
	global_store_dwordx2 v[13:14], v[3:4], off
	global_store_dwordx2 v[15:16], v[5:6], off
	s_waitcnt lgkmcnt(0)
	global_store_dwordx2 v[11:12], v[7:8], off
	global_store_dwordx2 v[17:18], v[9:10], off
	s_and_b32 exec_lo, exec_lo, vcc_lo
	s_cbranch_execz .LBB0_22
; %bb.21:
	ds_read_b64 v[2:3], v2 offset:1160
	s_waitcnt lgkmcnt(0)
	global_store_dwordx2 v[0:1], v[2:3], off offset:1280
.LBB0_22:
	s_endpgm
	.section	.rodata,"a",@progbits
	.p2align	6, 0x0
	.amdhsa_kernel fft_rtc_fwd_len160_factors_16_10_wgs_256_tpt_16_halfLds_sp_op_CI_CI_unitstride_sbrr_R2C_dirReg
		.amdhsa_group_segment_fixed_size 0
		.amdhsa_private_segment_fixed_size 0
		.amdhsa_kernarg_size 104
		.amdhsa_user_sgpr_count 6
		.amdhsa_user_sgpr_private_segment_buffer 1
		.amdhsa_user_sgpr_dispatch_ptr 0
		.amdhsa_user_sgpr_queue_ptr 0
		.amdhsa_user_sgpr_kernarg_segment_ptr 1
		.amdhsa_user_sgpr_dispatch_id 0
		.amdhsa_user_sgpr_flat_scratch_init 0
		.amdhsa_user_sgpr_private_segment_size 0
		.amdhsa_wavefront_size32 1
		.amdhsa_uses_dynamic_stack 0
		.amdhsa_system_sgpr_private_segment_wavefront_offset 0
		.amdhsa_system_sgpr_workgroup_id_x 1
		.amdhsa_system_sgpr_workgroup_id_y 0
		.amdhsa_system_sgpr_workgroup_id_z 0
		.amdhsa_system_sgpr_workgroup_info 0
		.amdhsa_system_vgpr_workitem_id 0
		.amdhsa_next_free_vgpr 63
		.amdhsa_next_free_sgpr 27
		.amdhsa_reserve_vcc 1
		.amdhsa_reserve_flat_scratch 0
		.amdhsa_float_round_mode_32 0
		.amdhsa_float_round_mode_16_64 0
		.amdhsa_float_denorm_mode_32 3
		.amdhsa_float_denorm_mode_16_64 3
		.amdhsa_dx10_clamp 1
		.amdhsa_ieee_mode 1
		.amdhsa_fp16_overflow 0
		.amdhsa_workgroup_processor_mode 1
		.amdhsa_memory_ordered 1
		.amdhsa_forward_progress 0
		.amdhsa_shared_vgpr_count 0
		.amdhsa_exception_fp_ieee_invalid_op 0
		.amdhsa_exception_fp_denorm_src 0
		.amdhsa_exception_fp_ieee_div_zero 0
		.amdhsa_exception_fp_ieee_overflow 0
		.amdhsa_exception_fp_ieee_underflow 0
		.amdhsa_exception_fp_ieee_inexact 0
		.amdhsa_exception_int_div_zero 0
	.end_amdhsa_kernel
	.text
.Lfunc_end0:
	.size	fft_rtc_fwd_len160_factors_16_10_wgs_256_tpt_16_halfLds_sp_op_CI_CI_unitstride_sbrr_R2C_dirReg, .Lfunc_end0-fft_rtc_fwd_len160_factors_16_10_wgs_256_tpt_16_halfLds_sp_op_CI_CI_unitstride_sbrr_R2C_dirReg
                                        ; -- End function
	.section	.AMDGPU.csdata,"",@progbits
; Kernel info:
; codeLenInByte = 5376
; NumSgprs: 29
; NumVgprs: 63
; ScratchSize: 0
; MemoryBound: 0
; FloatMode: 240
; IeeeMode: 1
; LDSByteSize: 0 bytes/workgroup (compile time only)
; SGPRBlocks: 3
; VGPRBlocks: 7
; NumSGPRsForWavesPerEU: 29
; NumVGPRsForWavesPerEU: 63
; Occupancy: 16
; WaveLimiterHint : 1
; COMPUTE_PGM_RSRC2:SCRATCH_EN: 0
; COMPUTE_PGM_RSRC2:USER_SGPR: 6
; COMPUTE_PGM_RSRC2:TRAP_HANDLER: 0
; COMPUTE_PGM_RSRC2:TGID_X_EN: 1
; COMPUTE_PGM_RSRC2:TGID_Y_EN: 0
; COMPUTE_PGM_RSRC2:TGID_Z_EN: 0
; COMPUTE_PGM_RSRC2:TIDIG_COMP_CNT: 0
	.text
	.p2alignl 6, 3214868480
	.fill 48, 4, 3214868480
	.type	__hip_cuid_85f94dd755e3df35,@object ; @__hip_cuid_85f94dd755e3df35
	.section	.bss,"aw",@nobits
	.globl	__hip_cuid_85f94dd755e3df35
__hip_cuid_85f94dd755e3df35:
	.byte	0                               ; 0x0
	.size	__hip_cuid_85f94dd755e3df35, 1

	.ident	"AMD clang version 19.0.0git (https://github.com/RadeonOpenCompute/llvm-project roc-6.4.0 25133 c7fe45cf4b819c5991fe208aaa96edf142730f1d)"
	.section	".note.GNU-stack","",@progbits
	.addrsig
	.addrsig_sym __hip_cuid_85f94dd755e3df35
	.amdgpu_metadata
---
amdhsa.kernels:
  - .args:
      - .actual_access:  read_only
        .address_space:  global
        .offset:         0
        .size:           8
        .value_kind:     global_buffer
      - .offset:         8
        .size:           8
        .value_kind:     by_value
      - .actual_access:  read_only
        .address_space:  global
        .offset:         16
        .size:           8
        .value_kind:     global_buffer
      - .actual_access:  read_only
        .address_space:  global
        .offset:         24
        .size:           8
        .value_kind:     global_buffer
      - .actual_access:  read_only
        .address_space:  global
        .offset:         32
        .size:           8
        .value_kind:     global_buffer
      - .offset:         40
        .size:           8
        .value_kind:     by_value
      - .actual_access:  read_only
        .address_space:  global
        .offset:         48
        .size:           8
        .value_kind:     global_buffer
      - .actual_access:  read_only
        .address_space:  global
        .offset:         56
        .size:           8
        .value_kind:     global_buffer
      - .offset:         64
        .size:           4
        .value_kind:     by_value
      - .actual_access:  read_only
        .address_space:  global
        .offset:         72
        .size:           8
        .value_kind:     global_buffer
      - .actual_access:  read_only
        .address_space:  global
        .offset:         80
        .size:           8
        .value_kind:     global_buffer
      - .actual_access:  read_only
        .address_space:  global
        .offset:         88
        .size:           8
        .value_kind:     global_buffer
      - .actual_access:  write_only
        .address_space:  global
        .offset:         96
        .size:           8
        .value_kind:     global_buffer
    .group_segment_fixed_size: 0
    .kernarg_segment_align: 8
    .kernarg_segment_size: 104
    .language:       OpenCL C
    .language_version:
      - 2
      - 0
    .max_flat_workgroup_size: 256
    .name:           fft_rtc_fwd_len160_factors_16_10_wgs_256_tpt_16_halfLds_sp_op_CI_CI_unitstride_sbrr_R2C_dirReg
    .private_segment_fixed_size: 0
    .sgpr_count:     29
    .sgpr_spill_count: 0
    .symbol:         fft_rtc_fwd_len160_factors_16_10_wgs_256_tpt_16_halfLds_sp_op_CI_CI_unitstride_sbrr_R2C_dirReg.kd
    .uniform_work_group_size: 1
    .uses_dynamic_stack: false
    .vgpr_count:     63
    .vgpr_spill_count: 0
    .wavefront_size: 32
    .workgroup_processor_mode: 1
amdhsa.target:   amdgcn-amd-amdhsa--gfx1030
amdhsa.version:
  - 1
  - 2
...

	.end_amdgpu_metadata
